;; amdgpu-corpus repo=ROCm/rocFFT kind=compiled arch=gfx1030 opt=O3
	.text
	.amdgcn_target "amdgcn-amd-amdhsa--gfx1030"
	.amdhsa_code_object_version 6
	.protected	fft_rtc_fwd_len17_factors_17_wgs_120_tpt_1_half_op_CI_CI_sbrc_xy_z_aligned ; -- Begin function fft_rtc_fwd_len17_factors_17_wgs_120_tpt_1_half_op_CI_CI_sbrc_xy_z_aligned
	.globl	fft_rtc_fwd_len17_factors_17_wgs_120_tpt_1_half_op_CI_CI_sbrc_xy_z_aligned
	.p2align	8
	.type	fft_rtc_fwd_len17_factors_17_wgs_120_tpt_1_half_op_CI_CI_sbrc_xy_z_aligned,@function
fft_rtc_fwd_len17_factors_17_wgs_120_tpt_1_half_op_CI_CI_sbrc_xy_z_aligned: ; @fft_rtc_fwd_len17_factors_17_wgs_120_tpt_1_half_op_CI_CI_sbrc_xy_z_aligned
; %bb.0:
	s_clause 0x2
	s_load_dwordx4 s[16:19], s[4:5], 0x10
	s_load_dwordx2 s[24:25], s[4:5], 0x20
	s_load_dwordx4 s[8:11], s[4:5], 0x58
	s_waitcnt lgkmcnt(0)
	s_load_dwordx4 s[20:23], s[16:17], 0x8
	s_load_dwordx4 s[12:15], s[18:19], 0x0
	s_waitcnt lgkmcnt(0)
	s_add_i32 s0, s22, -1
	s_load_dwordx2 s[22:23], s[18:19], 0x10
	s_mul_hi_u32 s0, s0, 0x88888889
	s_lshr_b32 s0, s0, 6
	s_add_i32 s0, s0, 1
	s_mul_i32 s26, s0, s20
	v_cvt_f32_u32_e32 v1, s26
	s_sub_i32 s1, 0, s26
	v_rcp_iflag_f32_e32 v1, v1
	v_mul_f32_e32 v1, 0x4f7ffffe, v1
	v_cvt_u32_f32_e32 v1, v1
	v_readfirstlane_b32 s0, v1
	v_cvt_f32_u32_e32 v1, s20
	s_mul_i32 s1, s1, s0
	s_mul_hi_u32 s1, s0, s1
	s_add_i32 s0, s0, s1
	s_mul_hi_u32 s7, s6, s0
	s_mul_i32 s0, s7, s26
	s_waitcnt lgkmcnt(0)
	s_add_i32 s23, s7, 1
	s_sub_i32 s15, s6, s0
	s_clause 0x1
	s_load_dwordx4 s[0:3], s[24:25], 0x0
	s_load_dwordx2 s[16:17], s[24:25], 0x10
	s_sub_i32 s27, s15, s26
	s_cmp_ge_u32 s15, s26
	s_waitcnt lgkmcnt(0)
	s_cselect_b32 s3, s23, s7
	s_cselect_b32 s7, s27, s15
	s_add_i32 s15, s3, 1
	s_cmp_ge_u32 s7, s26
	s_mov_b32 s7, 0
	s_cselect_b32 s3, s15, s3
	s_mov_b32 s29, s7
	s_mul_i32 s15, s3, s26
	s_mov_b64 s[26:27], 0
	s_sub_i32 s28, s6, s15
	v_cmp_lt_u64_e64 s15, s[28:29], s[20:21]
	s_and_b32 vcc_lo, exec_lo, s15
	s_cbranch_vccnz .LBB0_2
; %bb.1:
	v_rcp_iflag_f32_e32 v2, v1
	s_sub_i32 s17, 0, s20
	v_mul_f32_e32 v2, 0x4f7ffffe, v2
	v_cvt_u32_f32_e32 v2, v2
	v_readfirstlane_b32 s15, v2
	s_mul_i32 s17, s17, s15
	s_mul_hi_u32 s17, s15, s17
	s_add_i32 s15, s15, s17
	s_mul_hi_u32 s15, s28, s15
	s_mul_i32 s17, s15, s20
	s_add_i32 s23, s15, 1
	s_sub_i32 s17, s28, s17
	s_sub_i32 s26, s17, s20
	s_cmp_ge_u32 s17, s20
	s_cselect_b32 s15, s23, s15
	s_cselect_b32 s17, s26, s17
	s_add_i32 s23, s15, 1
	s_cmp_ge_u32 s17, s20
	s_cselect_b32 s26, s23, s15
.LBB0_2:
	v_cmp_lt_u64_e64 s7, s[6:7], s[20:21]
	s_and_b32 vcc_lo, exec_lo, s7
	s_cbranch_vccnz .LBB0_4
; %bb.3:
	v_rcp_iflag_f32_e32 v1, v1
	s_sub_i32 s15, 0, s20
	v_mul_f32_e32 v1, 0x4f7ffffe, v1
	v_cvt_u32_f32_e32 v1, v1
	v_readfirstlane_b32 s7, v1
	s_mul_i32 s15, s15, s7
	s_mul_hi_u32 s15, s7, s15
	s_add_i32 s7, s7, s15
	s_mul_hi_u32 s7, s6, s7
	s_mul_i32 s7, s7, s20
	s_sub_i32 s6, s6, s7
	s_sub_i32 s7, s6, s20
	s_cmp_ge_u32 s6, s20
	s_cselect_b32 s6, s7, s6
	s_sub_i32 s7, s6, s20
	s_cmp_ge_u32 s6, s20
	s_cselect_b32 s6, s7, s6
.LBB0_4:
	s_load_dwordx2 s[4:5], s[4:5], 0x8
	s_mul_i32 s17, s26, 0x78
	s_mul_i32 s7, s6, s14
	;; [unrolled: 1-line block ×4, first 2 shown]
	s_mul_hi_u32 s26, s0, s17
	s_add_i32 s14, s7, s14
	v_mul_u32_u24_e32 v1, 0xf10, v0
	v_add_nc_u32_e32 v3, 0x78, v0
	v_add_nc_u32_e32 v4, 0xf0, v0
	;; [unrolled: 1-line block ×3, first 2 shown]
	v_mov_b32_e32 v2, 0
	v_lshrrev_b32_e32 v1, 16, v1
	v_mul_u32_u24_e32 v5, 0xf10, v3
	v_mul_u32_u24_e32 v6, 0xf10, v4
	;; [unrolled: 1-line block ×3, first 2 shown]
	s_mov_b32 s15, 0
	v_mul_lo_u16 v7, v1, 17
	v_lshrrev_b32_e32 v13, 16, v5
	v_lshrrev_b32_e32 v15, 16, v6
	s_waitcnt lgkmcnt(0)
	s_lshl_b64 s[20:21], s[4:5], 3
	s_add_i32 s5, s26, s23
	s_add_u32 s18, s18, s20
	s_addc_u32 s19, s19, s21
	v_sub_nc_u16 v5, v0, v7
	s_load_dwordx2 s[26:27], s[18:19], 0x0
	v_mul_lo_u16 v6, v13, 17
	v_mul_lo_u16 v7, v15, 17
	v_lshrrev_b32_e32 v17, 16, v8
	v_and_b32_e32 v12, 0xffff, v5
	v_mul_lo_u32 v1, s22, v1
	v_sub_nc_u16 v5, v3, v6
	v_sub_nc_u16 v6, v4, v7
	v_mul_lo_u16 v14, v17, 17
	v_mad_u64_u32 v[3:4], null, s12, v12, 0
	v_and_b32_e32 v18, 0xffff, v5
	v_and_b32_e32 v19, 0xffff, v6
	v_sub_nc_u16 v14, v11, v14
	v_lshlrev_b64 v[9:10], 2, v[1:2]
	v_mul_lo_u32 v1, s22, v13
	v_mad_u64_u32 v[5:6], null, s12, v18, 0
	v_mad_u64_u32 v[7:8], null, s12, v19, 0
	s_waitcnt lgkmcnt(0)
	s_mul_i32 s4, s27, s3
	s_mul_hi_u32 s7, s26, s3
	s_mul_i32 s26, s26, s3
	s_add_i32 s27, s7, s4
	s_add_u32 s18, s24, s20
	s_addc_u32 s19, s25, s21
	v_mad_u64_u32 v[11:12], null, s13, v12, v[4:5]
	s_load_dwordx2 s[18:19], s[18:19], 0x0
	v_mov_b32_e32 v4, v6
	v_mov_b32_e32 v6, v8
	s_lshl_b64 s[20:21], s[26:27], 2
	v_and_b32_e32 v20, 0xffff, v14
	v_add_nc_u32_e32 v16, 0x1e0, v0
	v_mad_u64_u32 v[12:13], null, s13, v18, v[4:5]
	v_mov_b32_e32 v4, v11
	v_mad_u64_u32 v[13:14], null, s13, v19, v[6:7]
	v_mul_u32_u24_e32 v14, 0xf10, v16
	v_add_nc_u32_e32 v25, 0x3c0, v0
	v_lshlrev_b64 v[3:4], 2, v[3:4]
	v_mov_b32_e32 v6, v12
	v_add_nc_u32_e32 v28, 0x438, v0
	v_lshrrev_b32_e32 v18, 16, v14
	v_add_nc_u32_e32 v14, 0x258, v0
	s_waitcnt lgkmcnt(0)
	s_mul_i32 s4, s19, s3
	s_mul_hi_u32 s7, s18, s3
	s_add_i32 s7, s7, s4
	s_add_u32 s4, s8, s20
	s_addc_u32 s19, s9, s21
	s_lshl_b64 s[8:9], s[14:15], 2
	s_mul_i32 s14, s6, s16
	s_add_u32 s4, s4, s8
	s_addc_u32 s8, s19, s9
	v_add_co_u32 v8, vcc_lo, s4, v3
	v_add_co_ci_u32_e32 v11, vcc_lo, s8, v4, vcc_lo
	v_lshlrev_b64 v[3:4], 2, v[5:6]
	v_add_co_u32 v5, vcc_lo, v8, v9
	v_add_co_ci_u32_e32 v6, vcc_lo, v11, v10, vcc_lo
	v_mad_u64_u32 v[9:10], null, s12, v20, 0
	v_add_co_u32 v11, vcc_lo, s4, v3
	v_add_co_ci_u32_e32 v12, vcc_lo, s8, v4, vcc_lo
	v_lshlrev_b64 v[3:4], 2, v[1:2]
	v_mov_b32_e32 v8, v13
	v_mul_lo_u32 v1, s22, v15
	v_mul_lo_u16 v13, v18, 17
	s_mul_i32 s6, s18, s3
	v_lshlrev_b64 v[7:8], 2, v[7:8]
	v_add_co_u32 v3, vcc_lo, v11, v3
	v_mad_u64_u32 v[10:11], null, s13, v20, v[10:11]
	v_add_co_ci_u32_e32 v4, vcc_lo, v12, v4, vcc_lo
	v_lshlrev_b64 v[11:12], 2, v[1:2]
	v_sub_nc_u16 v1, v16, v13
	v_add_co_u32 v7, vcc_lo, s4, v7
	v_mul_u32_u24_e32 v13, 0xf10, v14
	v_add_co_ci_u32_e32 v8, vcc_lo, s8, v8, vcc_lo
	v_and_b32_e32 v15, 0xffff, v1
	v_add_co_u32 v7, vcc_lo, v7, v11
	v_lshrrev_b32_e32 v19, 16, v13
	v_add_co_ci_u32_e32 v8, vcc_lo, v8, v12, vcc_lo
	v_mad_u64_u32 v[11:12], null, s12, v15, 0
	v_lshlrev_b64 v[9:10], 2, v[9:10]
	v_mul_lo_u16 v13, v19, 17
	v_mul_lo_u32 v1, s22, v17
	v_add_nc_u32_e32 v20, 0x2d0, v0
	v_add_co_u32 v16, vcc_lo, s4, v9
	v_mov_b32_e32 v9, v12
	v_sub_nc_u16 v14, v14, v13
	v_add_co_ci_u32_e32 v17, vcc_lo, s8, v10, vcc_lo
	v_lshlrev_b64 v[12:13], 2, v[1:2]
	v_mad_u64_u32 v[9:10], null, s13, v15, v[9:10]
	v_and_b32_e32 v21, 0xffff, v14
	v_mul_u32_u24_e32 v1, 0xf10, v20
	v_add_co_u32 v16, vcc_lo, v16, v12
	v_mad_u64_u32 v[14:15], null, s12, v21, 0
	v_mov_b32_e32 v12, v9
	v_lshrrev_b32_e32 v23, 16, v1
	v_mul_lo_u32 v1, s22, v18
	v_add_nc_u32_e32 v18, 0x348, v0
	v_add_co_ci_u32_e32 v17, vcc_lo, v17, v13, vcc_lo
	v_lshlrev_b64 v[10:11], 2, v[11:12]
	v_mov_b32_e32 v9, v15
	v_mul_lo_u16 v15, v23, 17
	v_mad_u64_u32 v[12:13], null, s13, v21, v[9:10]
	v_sub_nc_u16 v13, v20, v15
	v_mul_u32_u24_e32 v15, 0xf10, v18
	v_add_co_u32 v20, vcc_lo, s4, v10
	v_lshlrev_b64 v[9:10], 2, v[1:2]
	v_and_b32_e32 v22, 0xffff, v13
	v_lshrrev_b32_e32 v24, 16, v15
	v_add_co_ci_u32_e32 v21, vcc_lo, s8, v11, vcc_lo
	v_mov_b32_e32 v15, v12
	v_add_co_u32 v9, vcc_lo, v20, v9
	v_mul_lo_u16 v13, v24, 17
	v_mad_u64_u32 v[11:12], null, s12, v22, 0
	v_add_co_ci_u32_e32 v10, vcc_lo, v21, v10, vcc_lo
	v_sub_nc_u16 v20, v18, v13
	v_mul_u32_u24_e32 v21, 0xf10, v25
	v_lshlrev_b64 v[13:14], 2, v[14:15]
	v_mul_lo_u32 v1, s22, v19
	v_and_b32_e32 v26, 0xffff, v20
	v_lshrrev_b32_e32 v27, 16, v21
	v_mad_u64_u32 v[20:21], null, s13, v22, v[12:13]
	v_mad_u64_u32 v[21:22], null, s12, v26, 0
	v_lshlrev_b64 v[18:19], 2, v[1:2]
	v_mul_lo_u16 v1, v27, 17
	v_add_co_u32 v13, vcc_lo, s4, v13
	v_mov_b32_e32 v12, v20
	v_add_co_ci_u32_e32 v14, vcc_lo, s8, v14, vcc_lo
	v_sub_nc_u16 v20, v25, v1
	v_mov_b32_e32 v15, v22
	v_add_co_u32 v13, vcc_lo, v13, v18
	v_mul_lo_u32 v1, s22, v23
	v_and_b32_e32 v23, 0xffff, v20
	v_lshlrev_b64 v[11:12], 2, v[11:12]
	v_add_co_ci_u32_e32 v14, vcc_lo, v14, v19, vcc_lo
	v_mad_u64_u32 v[18:19], null, s13, v26, v[15:16]
	v_mad_u64_u32 v[19:20], null, s12, v23, 0
	v_add_co_u32 v25, vcc_lo, s4, v11
	v_add_co_ci_u32_e32 v26, vcc_lo, s8, v12, vcc_lo
	v_lshlrev_b64 v[11:12], 2, v[1:2]
	v_mov_b32_e32 v22, v18
	v_mul_u32_u24_e32 v18, 0xf10, v28
	v_mul_lo_u32 v1, s22, v24
	v_mov_b32_e32 v15, v20
	v_add_co_u32 v11, vcc_lo, v25, v11
	v_lshrrev_b32_e32 v25, 16, v18
	v_lshlrev_b64 v[20:21], 2, v[21:22]
	v_mad_u64_u32 v[22:23], null, s13, v23, v[15:16]
	v_lshlrev_b64 v[23:24], 2, v[1:2]
	v_mul_lo_u16 v1, v25, 17
	v_add_nc_u32_e32 v15, 0x4b0, v0
	v_add_co_ci_u32_e32 v12, vcc_lo, v26, v12, vcc_lo
	v_add_co_u32 v18, vcc_lo, s4, v20
	v_sub_nc_u16 v1, v28, v1
	v_mul_u32_u24_e32 v28, 0xf10, v15
	v_add_co_ci_u32_e32 v26, vcc_lo, s8, v21, vcc_lo
	v_add_co_u32 v21, vcc_lo, v18, v23
	v_mov_b32_e32 v20, v22
	v_lshrrev_b32_e32 v28, 16, v28
	v_add_co_ci_u32_e32 v22, vcc_lo, v26, v24, vcc_lo
	v_and_b32_e32 v26, 0xffff, v1
	v_mul_lo_u32 v1, s22, v27
	v_lshlrev_b64 v[18:19], 2, v[19:20]
	v_mul_lo_u16 v20, v28, 17
	s_clause 0x7
	global_load_dword v29, v[5:6], off
	global_load_dword v30, v[3:4], off
	;; [unrolled: 1-line block ×8, first 2 shown]
	v_mad_u64_u32 v[23:24], null, s12, v26, 0
	v_add_nc_u32_e32 v12, 0x528, v0
	v_sub_nc_u16 v6, v15, v20
	v_lshlrev_b64 v[4:5], 2, v[1:2]
	v_add_co_u32 v9, vcc_lo, s4, v18
	v_mul_u32_u24_e32 v1, 0xf10, v12
	v_mov_b32_e32 v3, v24
	v_and_b32_e32 v11, 0xffff, v6
	v_add_co_ci_u32_e32 v10, vcc_lo, s8, v19, vcc_lo
	v_add_nc_u32_e32 v13, 0x5a0, v0
	v_mad_u64_u32 v[6:7], null, s13, v26, v[3:4]
	v_mad_u64_u32 v[7:8], null, s12, v11, 0
	v_lshrrev_b32_e32 v16, 16, v1
	v_add_co_u32 v3, vcc_lo, v9, v4
	v_add_co_ci_u32_e32 v4, vcc_lo, v10, v5, vcc_lo
	v_mul_u32_u24_e32 v14, 0xf10, v13
	v_mov_b32_e32 v5, v8
	v_mul_lo_u16 v10, v16, 17
	v_mov_b32_e32 v24, v6
	v_mul_lo_u32 v1, s22, v25
	v_lshrrev_b32_e32 v17, 16, v14
	v_mad_u64_u32 v[5:6], null, s13, v11, v[5:6]
	v_sub_nc_u16 v6, v12, v10
	v_lshlrev_b64 v[8:9], 2, v[23:24]
	v_mul_lo_u16 v15, v17, 17
	v_add_nc_u32_e32 v19, 0x618, v0
	v_add_nc_u32_e32 v21, 0x708, v0
	v_and_b32_e32 v14, 0xffff, v6
	v_or_b32_e32 v23, 0x780, v0
	v_add_co_u32 v11, vcc_lo, s4, v8
	v_mov_b32_e32 v8, v5
	v_sub_nc_u16 v13, v13, v15
	v_add_co_ci_u32_e32 v12, vcc_lo, s8, v9, vcc_lo
	v_lshlrev_b64 v[9:10], 2, v[1:2]
	v_mad_u64_u32 v[5:6], null, s12, v14, 0
	v_mul_lo_u32 v1, s22, v28
	v_lshlrev_b64 v[7:8], 2, v[7:8]
	v_and_b32_e32 v18, 0xffff, v13
	v_add_co_u32 v9, vcc_lo, v11, v9
	v_add_co_ci_u32_e32 v10, vcc_lo, v12, v10, vcc_lo
	v_mad_u64_u32 v[13:14], null, s13, v14, v[6:7]
	v_lshlrev_b64 v[11:12], 2, v[1:2]
	v_mul_u32_u24_e32 v1, 0xf10, v19
	v_mad_u64_u32 v[14:15], null, s12, v18, 0
	v_add_co_u32 v7, vcc_lo, s4, v7
	v_lshrrev_b32_e32 v20, 16, v1
	v_add_co_ci_u32_e32 v8, vcc_lo, s8, v8, vcc_lo
	v_mov_b32_e32 v6, v13
	v_add_co_u32 v7, vcc_lo, v7, v11
	v_mov_b32_e32 v11, v15
	v_mul_lo_u16 v13, v20, 17
	v_lshlrev_b64 v[5:6], 2, v[5:6]
	v_mul_lo_u32 v1, s22, v16
	v_add_co_ci_u32_e32 v8, vcc_lo, v8, v12, vcc_lo
	v_mad_u64_u32 v[11:12], null, s13, v18, v[11:12]
	v_sub_nc_u16 v12, v19, v13
	v_add_nc_u32_e32 v19, 0x690, v0
	v_add_co_u32 v13, vcc_lo, s4, v5
	v_add_co_ci_u32_e32 v16, vcc_lo, s8, v6, vcc_lo
	v_and_b32_e32 v18, 0xffff, v12
	v_lshlrev_b64 v[5:6], 2, v[1:2]
	v_mov_b32_e32 v15, v11
	v_mul_u32_u24_e32 v1, 0xf10, v19
	v_mul_u32_u24_e32 v22, 0xf10, v21
	v_mad_u64_u32 v[11:12], null, s12, v18, 0
	v_add_co_u32 v5, vcc_lo, v13, v5
	v_lshrrev_b32_e32 v24, 16, v1
	v_lshlrev_b64 v[13:14], 2, v[14:15]
	v_mul_lo_u32 v1, s22, v17
	v_add_co_ci_u32_e32 v6, vcc_lo, v16, v6, vcc_lo
	v_mul_lo_u16 v17, v24, 17
	v_lshrrev_b32_e32 v28, 16, v22
	v_mad_u64_u32 v[15:16], null, s13, v18, v[12:13]
	v_mul_u32_u24_e32 v16, 0xf10, v23
	v_sub_nc_u16 v12, v19, v17
	v_add_co_u32 v17, vcc_lo, s4, v13
	v_add_co_ci_u32_e32 v18, vcc_lo, s8, v14, vcc_lo
	v_lshlrev_b64 v[13:14], 2, v[1:2]
	v_mul_lo_u16 v1, v28, 17
	v_lshrrev_b32_e32 v37, 16, v16
	v_and_b32_e32 v19, 0xffff, v12
	v_mov_b32_e32 v12, v15
	v_sub_nc_u16 v21, v21, v1
	v_mul_lo_u16 v1, v37, 17
	v_add_co_u32 v13, vcc_lo, v17, v13
	v_mad_u64_u32 v[15:16], null, s12, v19, 0
	v_sub_nc_u16 v17, v23, v1
	v_and_b32_e32 v25, 0xffff, v21
	v_add_co_ci_u32_e32 v14, vcc_lo, v18, v14, vcc_lo
	v_lshlrev_b64 v[11:12], 2, v[11:12]
	v_and_b32_e32 v26, 0xffff, v17
	v_mad_u64_u32 v[17:18], null, s12, v25, 0
	v_mul_lo_u32 v1, s22, v20
	v_add_co_u32 v27, vcc_lo, s4, v11
	v_add_co_ci_u32_e32 v38, vcc_lo, s8, v12, vcc_lo
	v_mad_u64_u32 v[19:20], null, s13, v19, v[16:17]
	v_mad_u64_u32 v[20:21], null, s12, v26, 0
	v_mov_b32_e32 v11, v18
	v_lshlrev_b64 v[22:23], 2, v[1:2]
	v_mul_lo_u32 v1, s22, v24
	v_mov_b32_e32 v16, v19
	v_mad_u64_u32 v[11:12], null, s13, v25, v[11:12]
	v_mov_b32_e32 v12, v21
	v_add_co_u32 v22, vcc_lo, v27, v22
	v_lshlrev_b64 v[15:16], 2, v[15:16]
	v_lshlrev_b64 v[24:25], 2, v[1:2]
	v_mad_u64_u32 v[26:27], null, s13, v26, v[12:13]
	v_mul_lo_u32 v1, s22, v28
	v_mov_b32_e32 v18, v11
	v_add_co_ci_u32_e32 v23, vcc_lo, v38, v23, vcc_lo
	v_add_co_u32 v15, vcc_lo, s4, v15
	v_mov_b32_e32 v21, v26
	v_add_co_ci_u32_e32 v16, vcc_lo, s8, v16, vcc_lo
	v_lshlrev_b64 v[11:12], 2, v[17:18]
	v_lshlrev_b64 v[17:18], 2, v[1:2]
	v_mul_lo_u32 v1, s22, v37
	v_add_co_u32 v15, vcc_lo, v15, v24
	v_lshlrev_b64 v[19:20], 2, v[20:21]
	v_add_co_ci_u32_e32 v16, vcc_lo, v16, v25, vcc_lo
	v_add_co_u32 v21, vcc_lo, s4, v11
	v_add_co_ci_u32_e32 v24, vcc_lo, s8, v12, vcc_lo
	v_add_co_u32 v19, vcc_lo, s4, v19
	v_lshlrev_b64 v[11:12], 2, v[1:2]
	v_add_co_ci_u32_e32 v20, vcc_lo, s8, v20, vcc_lo
	v_add_co_u32 v17, vcc_lo, v21, v17
	v_add_co_ci_u32_e32 v18, vcc_lo, v24, v18, vcc_lo
	v_add_co_u32 v11, vcc_lo, v19, v11
	v_add_co_ci_u32_e32 v12, vcc_lo, v20, v12, vcc_lo
	s_clause 0x8
	global_load_dword v3, v[3:4], off
	global_load_dword v4, v[9:10], off
	;; [unrolled: 1-line block ×9, first 2 shown]
	v_add_nc_u32_e32 v1, s17, v0
	v_lshl_add_u32 v13, v0, 2, 0
	s_mul_i32 s4, s0, s17
	v_mul_hi_u32 v12, 0x88888889, v1
	v_add_nc_u32_e32 v14, 0x200, v13
	v_add_nc_u32_e32 v15, 0x600, v13
	;; [unrolled: 1-line block ×6, first 2 shown]
	v_lshrrev_b32_e32 v12, 6, v12
	v_mul_lo_u32 v12, 0x78, v12
	v_sub_nc_u32_e32 v1, v1, v12
	v_add_nc_u32_e32 v12, 0xe00, v13
	s_waitcnt vmcnt(15)
	ds_write2_b32 v13, v29, v30 offset1:120
	s_waitcnt vmcnt(13)
	ds_write2_b32 v14, v31, v32 offset0:112 offset1:232
	s_waitcnt vmcnt(11)
	ds_write2_b32 v15, v33, v34 offset0:96 offset1:216
	;; [unrolled: 2-line block ×7, first 2 shown]
	s_waitcnt vmcnt(0)
	ds_write_b32 v13, v11 offset:7680
	v_mad_u32_u24 v1, 0x44, v1, 0
	s_waitcnt lgkmcnt(0)
	s_barrier
	buffer_gl0_inv
	ds_read2_b32 v[3:4], v1 offset0:15 offset1:16
	ds_read2_b32 v[17:18], v1 offset0:1 offset1:2
	;; [unrolled: 1-line block ×4, first 2 shown]
	ds_read_b32 v32, v1
	ds_read2_b32 v[5:6], v1 offset0:13 offset1:14
	ds_read2_b32 v[7:8], v1 offset0:11 offset1:12
	;; [unrolled: 1-line block ×4, first 2 shown]
	s_waitcnt lgkmcnt(0)
	s_barrier
	buffer_gl0_inv
	v_add_f16_e32 v38, v4, v17
	v_add_f16_sdwa v37, v4, v17 dst_sel:DWORD dst_unused:UNUSED_PAD src0_sel:WORD_1 src1_sel:WORD_1
	v_sub_f16_e32 v39, v17, v4
	v_add_f16_e32 v19, v17, v32
	v_add_f16_sdwa v22, v17, v32 dst_sel:DWORD dst_unused:UNUSED_PAD src0_sel:WORD_1 src1_sel:WORD_1
	v_add_f16_e32 v33, v5, v16
	v_add_f16_sdwa v34, v5, v16 dst_sel:DWORD dst_unused:UNUSED_PAD src0_sel:WORD_1 src1_sel:WORD_1
	v_sub_f16_e32 v35, v16, v5
	v_add_f16_e32 v19, v19, v18
	v_add_f16_sdwa v49, v22, v18 dst_sel:DWORD dst_unused:UNUSED_PAD src0_sel:DWORD src1_sel:WORD_1
	v_sub_f16_sdwa v36, v16, v5 dst_sel:DWORD dst_unused:UNUSED_PAD src0_sel:WORD_1 src1_sel:WORD_1
	v_add_f16_e32 v29, v8, v13
	v_add_f16_sdwa v28, v8, v13 dst_sel:DWORD dst_unused:UNUSED_PAD src0_sel:WORD_1 src1_sel:WORD_1
	v_add_f16_e32 v50, v19, v15
	v_add_f16_sdwa v49, v49, v15 dst_sel:DWORD dst_unused:UNUSED_PAD src0_sel:DWORD src1_sel:WORD_1
	v_sub_f16_e32 v31, v13, v8
	v_sub_f16_sdwa v30, v13, v8 dst_sel:DWORD dst_unused:UNUSED_PAD src0_sel:WORD_1 src1_sel:WORD_1
	v_add_f16_e32 v21, v10, v11
	v_add_f16_e32 v50, v50, v16
	v_add_f16_sdwa v16, v49, v16 dst_sel:DWORD dst_unused:UNUSED_PAD src0_sel:DWORD src1_sel:WORD_1
	v_add_f16_sdwa v20, v10, v11 dst_sel:DWORD dst_unused:UNUSED_PAD src0_sel:WORD_1 src1_sel:WORD_1
	v_sub_f16_e32 v23, v11, v10
	v_sub_f16_sdwa v22, v11, v10 dst_sel:DWORD dst_unused:UNUSED_PAD src0_sel:WORD_1 src1_sel:WORD_1
	v_add_f16_e32 v50, v50, v13
	v_add_f16_sdwa v13, v16, v13 dst_sel:DWORD dst_unused:UNUSED_PAD src0_sel:DWORD src1_sel:WORD_1
	v_sub_f16_sdwa v44, v17, v4 dst_sel:DWORD dst_unused:UNUSED_PAD src0_sel:WORD_1 src1_sel:WORD_1
	v_add_f16_e32 v45, v3, v18
	v_add_f16_sdwa v46, v3, v18 dst_sel:DWORD dst_unused:UNUSED_PAD src0_sel:WORD_1 src1_sel:WORD_1
	v_add_f16_e32 v50, v50, v14
	v_add_f16_sdwa v13, v13, v14 dst_sel:DWORD dst_unused:UNUSED_PAD src0_sel:DWORD src1_sel:WORD_1
	v_sub_f16_e32 v47, v18, v3
	v_sub_f16_sdwa v48, v18, v3 dst_sel:DWORD dst_unused:UNUSED_PAD src0_sel:WORD_1 src1_sel:WORD_1
	v_add_f16_e32 v40, v6, v15
	v_add_f16_e32 v50, v50, v11
	v_add_f16_sdwa v11, v13, v11 dst_sel:DWORD dst_unused:UNUSED_PAD src0_sel:DWORD src1_sel:WORD_1
	v_add_f16_sdwa v41, v6, v15 dst_sel:DWORD dst_unused:UNUSED_PAD src0_sel:WORD_1 src1_sel:WORD_1
	v_sub_f16_e32 v43, v15, v6
	v_sub_f16_sdwa v42, v15, v6 dst_sel:DWORD dst_unused:UNUSED_PAD src0_sel:WORD_1 src1_sel:WORD_1
	v_add_f16_e32 v50, v50, v12
	v_add_f16_sdwa v11, v11, v12 dst_sel:DWORD dst_unused:UNUSED_PAD src0_sel:DWORD src1_sel:WORD_1
	v_add_f16_e32 v18, v9, v12
	v_add_f16_sdwa v17, v9, v12 dst_sel:DWORD dst_unused:UNUSED_PAD src0_sel:WORD_1 src1_sel:WORD_1
	v_sub_f16_e32 v19, v12, v9
	v_sub_f16_sdwa v15, v12, v9 dst_sel:DWORD dst_unused:UNUSED_PAD src0_sel:WORD_1 src1_sel:WORD_1
	v_add_f16_e32 v50, v50, v9
	v_add_f16_sdwa v9, v11, v9 dst_sel:DWORD dst_unused:UNUSED_PAD src0_sel:DWORD src1_sel:WORD_1
	v_add_f16_e32 v26, v7, v14
	v_add_f16_sdwa v24, v7, v14 dst_sel:DWORD dst_unused:UNUSED_PAD src0_sel:WORD_1 src1_sel:WORD_1
	v_sub_f16_e32 v27, v14, v7
	v_add_f16_e32 v50, v50, v10
	v_add_f16_sdwa v9, v9, v10 dst_sel:DWORD dst_unused:UNUSED_PAD src0_sel:DWORD src1_sel:WORD_1
	v_sub_f16_sdwa v25, v14, v7 dst_sel:DWORD dst_unused:UNUSED_PAD src0_sel:WORD_1 src1_sel:WORD_1
	v_mul_f16_e32 v49, 0xb5c8, v39
	v_mul_f16_e32 v52, 0xb964, v44
	v_add_f16_e32 v50, v50, v7
	v_add_f16_sdwa v7, v9, v7 dst_sel:DWORD dst_unused:UNUSED_PAD src0_sel:DWORD src1_sel:WORD_1
	v_pack_b32_f16 v56, v39, v38
	v_mul_f16_e32 v57, 0xb964, v39
	v_mul_f16_e32 v13, 0xbb29, v39
	v_add_f16_e32 v50, v50, v8
	v_add_f16_sdwa v7, v7, v8 dst_sel:DWORD dst_unused:UNUSED_PAD src0_sel:DWORD src1_sel:WORD_1
	v_mul_f16_e32 v58, 0xbbf7, v39
	v_mul_f16_e32 v59, 0xbbb2, v39
	v_mul_f16_e32 v12, 0xba62, v39
	v_add_f16_e32 v50, v50, v5
	v_add_f16_sdwa v5, v7, v5 dst_sel:DWORD dst_unused:UNUSED_PAD src0_sel:DWORD src1_sel:WORD_1
	v_mul_f16_e32 v39, 0xb836, v39
	;; [unrolled: 5-line block ×4, first 2 shown]
	v_pack_b32_f16 v44, v37, v44
	v_fma_f16 v60, v38, 0x39e9, -v52
	v_fmamk_f16 v62, v37, 0x2de8, v58
	v_add_f16_e32 v50, v50, v4
	v_add_f16_sdwa v3, v3, v4 dst_sel:WORD_1 dst_unused:UNUSED_PAD src0_sel:DWORD src1_sel:WORD_1
	v_pk_mul_f16 v56, 0xbbddb1e1, v56
	v_fmamk_f16 v63, v37, 0xbacd, v39
	v_fma_f16 v11, v38, 0x3b76, -v51
	v_fmac_f16_e32 v51, 0x3b76, v38
	v_fmac_f16_e32 v52, 0x39e9, v38
	v_fma_f16 v10, v38, 0x3722, -v53
	v_fmac_f16_e32 v53, 0x3722, v38
	v_fma_f16 v9, v38, 0x2de8, -v16
	;; [unrolled: 2-line block ×5, first 2 shown]
	v_fmac_f16_e32 v14, 0xbacd, v38
	v_fmamk_f16 v38, v37, 0x3b76, v49
	v_fma_f16 v6, v37, 0x3b76, -v49
	v_fmamk_f16 v49, v37, 0x39e9, v57
	v_fma_f16 v57, v37, 0x39e9, -v57
	;; [unrolled: 2-line block ×3, first 2 shown]
	v_fma_f16 v4, v37, 0x2de8, -v58
	v_fmamk_f16 v58, v37, 0xb461, v59
	v_fma_f16 v59, v37, 0xb461, -v59
	v_or_b32_sdwa v3, v3, v50 dst_sel:DWORD dst_unused:UNUSED_PAD src0_sel:DWORD src1_sel:WORD_0
	v_fmamk_f16 v50, v37, 0xb8d2, v12
	v_fma_f16 v12, v37, 0xb8d2, -v12
	v_fma_f16 v37, v37, 0xbacd, -v39
	v_pk_fma_f16 v39, 0xb1e1bbdd, v44, v56 neg_lo:[0,1,0] neg_hi:[0,1,0]
	v_pk_fma_f16 v64, 0xb1e1bbdd, v44, v56
	v_pk_fma_f16 v44, 0xb1e1bbdd, v44, v56 neg_lo:[0,0,1] neg_hi:[0,0,1]
	v_add_f16_e32 v56, v60, v32
	v_add_f16_sdwa v60, v62, v32 dst_sel:DWORD dst_unused:UNUSED_PAD src0_sel:DWORD src1_sel:WORD_1
	v_add_f16_sdwa v62, v63, v32 dst_sel:DWORD dst_unused:UNUSED_PAD src0_sel:DWORD src1_sel:WORD_1
	v_mul_f16_e32 v63, 0xb964, v48
	v_mul_f16_e32 v65, 0xb964, v47
	v_add_f16_e32 v11, v11, v32
	v_add_f16_sdwa v38, v38, v32 dst_sel:DWORD dst_unused:UNUSED_PAD src0_sel:DWORD src1_sel:WORD_1
	v_add_f16_e32 v51, v51, v32
	v_add_f16_sdwa v6, v6, v32 dst_sel:DWORD dst_unused:UNUSED_PAD src0_sel:DWORD src1_sel:WORD_1
	v_add_f16_sdwa v49, v49, v32 dst_sel:DWORD dst_unused:UNUSED_PAD src0_sel:DWORD src1_sel:WORD_1
	v_add_f16_e32 v52, v52, v32
	v_add_f16_sdwa v57, v57, v32 dst_sel:DWORD dst_unused:UNUSED_PAD src0_sel:DWORD src1_sel:WORD_1
	v_add_f16_e32 v10, v10, v32
	;; [unrolled: 2-line block ×4, first 2 shown]
	v_add_f16_e32 v16, v16, v32
	v_add_f16_sdwa v4, v4, v32 dst_sel:DWORD dst_unused:UNUSED_PAD src0_sel:DWORD src1_sel:WORD_1
	v_add_f16_e32 v61, v61, v32
	v_add_f16_sdwa v58, v58, v32 dst_sel:DWORD dst_unused:UNUSED_PAD src0_sel:DWORD src1_sel:WORD_1
	;; [unrolled: 2-line block ×5, first 2 shown]
	v_add_f16_e32 v7, v7, v32
	v_add_f16_e32 v14, v14, v32
	v_add_f16_sdwa v37, v37, v32 dst_sel:DWORD dst_unused:UNUSED_PAD src0_sel:DWORD src1_sel:WORD_1
	v_pk_add_f16 v39, v39, v32 op_sel:[0,1] op_sel_hi:[1,0]
	v_fma_f16 v66, v45, 0x39e9, -v63
	v_pk_add_f16 v64, v64, v32 op_sel:[0,1] op_sel_hi:[1,0]
	v_pk_add_f16 v32, v44, v32 op_sel:[0,1] op_sel_hi:[1,0]
	v_mul_f16_e32 v44, 0xbbf7, v48
	v_fmamk_f16 v67, v46, 0x39e9, v65
	v_add_f16_e32 v11, v66, v11
	v_fma_f16 v65, v46, 0x39e9, -v65
	v_fmac_f16_e32 v63, 0x39e9, v45
	v_fma_f16 v66, v45, 0x2de8, -v44
	v_add_f16_e32 v38, v67, v38
	v_mul_f16_e32 v67, 0xbbf7, v47
	v_add_f16_e32 v6, v65, v6
	v_fmac_f16_e32 v44, 0x2de8, v45
	v_add_f16_e32 v56, v66, v56
	v_add_f16_e32 v51, v63, v51
	v_fmamk_f16 v65, v46, 0x2de8, v67
	v_fma_f16 v66, v46, 0x2de8, -v67
	v_mul_f16_e32 v67, 0xba62, v47
	v_mul_f16_e32 v63, 0xba62, v48
	v_add_f16_e32 v44, v44, v52
	v_add_f16_e32 v49, v65, v49
	;; [unrolled: 1-line block ×3, first 2 shown]
	v_fmamk_f16 v57, v46, 0xb8d2, v67
	v_fma_f16 v68, v45, 0xb8d2, -v63
	v_mul_f16_e32 v65, 0xb1e1, v48
	v_fmac_f16_e32 v63, 0xb8d2, v45
	v_fma_f16 v66, v46, 0xb8d2, -v67
	v_add_f16_e32 v5, v57, v5
	v_mul_f16_e32 v57, 0xb1e1, v47
	v_fma_f16 v67, v45, 0xbbdd, -v65
	v_add_f16_e32 v53, v63, v53
	v_add_f16_e32 v13, v66, v13
	v_mul_f16_e32 v63, 0x3836, v48
	v_fmamk_f16 v66, v46, 0xbbdd, v57
	v_add_f16_e32 v9, v67, v9
	v_fmac_f16_e32 v65, 0xbbdd, v45
	v_fma_f16 v57, v46, 0xbbdd, -v57
	v_fma_f16 v67, v45, 0xbacd, -v63
	v_add_f16_e32 v60, v66, v60
	v_mul_f16_e32 v66, 0x3836, v47
	v_add_f16_e32 v16, v65, v16
	v_add_f16_e32 v4, v57, v4
	;; [unrolled: 1-line block ×3, first 2 shown]
	v_mul_f16_e32 v67, 0x3bb2, v47
	v_fmamk_f16 v65, v46, 0xbacd, v66
	v_mul_f16_e32 v61, 0x3bb2, v48
	v_fmac_f16_e32 v63, 0xbacd, v45
	v_fma_f16 v66, v46, 0xbacd, -v66
	v_add_f16_e32 v10, v68, v10
	v_add_f16_e32 v58, v65, v58
	v_fmamk_f16 v65, v46, 0xb461, v67
	v_fma_f16 v68, v45, 0xb461, -v61
	v_add_f16_e32 v54, v63, v54
	v_add_f16_e32 v59, v66, v59
	v_fmac_f16_e32 v61, 0xb461, v45
	v_add_f16_e32 v50, v65, v50
	v_mul_f16_e32 v63, 0x3b29, v48
	v_fma_f16 v65, v46, 0xb461, -v67
	v_mul_f16_e32 v66, 0x3b29, v47
	v_pack_b32_f16 v47, v47, v45
	v_add_f16_e32 v55, v61, v55
	v_fma_f16 v61, v45, 0x3722, -v63
	v_add_f16_e32 v12, v65, v12
	v_fmamk_f16 v65, v46, 0x3722, v66
	v_pack_b32_f16 v48, v46, v48
	v_pk_mul_f16 v47, 0x3b7635c8, v47
	v_fma_f16 v46, v46, 0x3722, -v66
	v_add_f16_e32 v7, v61, v7
	v_fmac_f16_e32 v63, 0x3722, v45
	v_add_f16_e32 v45, v65, v62
	v_pk_fma_f16 v61, 0x35c83b76, v48, v47 neg_lo:[0,1,0] neg_hi:[0,1,0]
	v_pk_fma_f16 v62, 0x35c83b76, v48, v47
	v_pk_fma_f16 v47, 0x35c83b76, v48, v47 neg_lo:[0,0,1] neg_hi:[0,0,1]
	v_mul_f16_e32 v48, 0xbb29, v42
	v_add_f16_e32 v37, v46, v37
	v_mul_f16_e32 v46, 0xbb29, v43
	v_add_f16_e32 v14, v63, v14
	v_pk_add_f16 v39, v61, v39
	v_fma_f16 v61, v40, 0x3722, -v48
	v_pk_add_f16 v32, v47, v32
	v_mul_f16_e32 v47, 0xba62, v42
	v_fmamk_f16 v63, v41, 0x3722, v46
	v_fma_f16 v46, v41, 0x3722, -v46
	v_add_f16_e32 v11, v61, v11
	v_fmac_f16_e32 v48, 0x3722, v40
	v_fma_f16 v61, v40, 0xb8d2, -v47
	v_add_f16_e32 v38, v63, v38
	v_mul_f16_e32 v63, 0xba62, v43
	v_add_f16_e32 v6, v46, v6
	v_fmac_f16_e32 v47, 0xb8d2, v40
	v_add_f16_e32 v46, v61, v56
	v_add_f16_e32 v48, v48, v51
	v_fmamk_f16 v56, v41, 0xb8d2, v63
	v_fma_f16 v61, v41, 0xb8d2, -v63
	v_mul_f16_e32 v63, 0x31e1, v43
	v_mul_f16_e32 v51, 0x31e1, v42
	v_add_f16_e32 v44, v47, v44
	v_pk_add_f16 v62, v62, v64
	v_add_f16_e32 v47, v61, v52
	v_fmamk_f16 v52, v41, 0xbbdd, v63
	v_fma_f16 v64, v40, 0xbbdd, -v51
	v_add_f16_e32 v49, v56, v49
	v_mul_f16_e32 v56, 0x3bb2, v42
	v_fmac_f16_e32 v51, 0xbbdd, v40
	v_fma_f16 v61, v41, 0xbbdd, -v63
	v_add_f16_e32 v5, v52, v5
	v_mul_f16_e32 v52, 0x3bb2, v43
	v_fma_f16 v63, v40, 0xb461, -v56
	v_add_f16_e32 v51, v51, v53
	v_add_f16_e32 v13, v61, v13
	v_mul_f16_e32 v53, 0x3964, v42
	v_fmamk_f16 v61, v41, 0xb461, v52
	v_add_f16_e32 v9, v63, v9
	v_fma_f16 v52, v41, 0xb461, -v52
	v_fmac_f16_e32 v56, 0xb461, v40
	v_fma_f16 v63, v40, 0x39e9, -v53
	v_add_f16_e32 v60, v61, v60
	v_mul_f16_e32 v61, 0x3964, v43
	v_add_f16_e32 v4, v52, v4
	v_add_f16_e32 v16, v56, v16
	v_add_f16_e32 v52, v63, v57
	v_mul_f16_e32 v63, 0xb5c8, v43
	v_fmamk_f16 v57, v41, 0x39e9, v61
	v_mul_f16_e32 v56, 0xb5c8, v42
	v_fmac_f16_e32 v53, 0x39e9, v40
	v_fma_f16 v61, v41, 0x39e9, -v61
	v_add_f16_e32 v10, v64, v10
	v_add_f16_e32 v57, v57, v58
	v_fmamk_f16 v58, v41, 0x3b76, v63
	v_fma_f16 v64, v40, 0x3b76, -v56
	v_add_f16_e32 v53, v53, v54
	v_add_f16_e32 v54, v61, v59
	v_fmac_f16_e32 v56, 0x3b76, v40
	v_add_f16_e32 v50, v58, v50
	v_mul_f16_e32 v58, 0xbbf7, v42
	v_fma_f16 v59, v41, 0x3b76, -v63
	v_mul_f16_e32 v61, 0xbbf7, v43
	v_pack_b32_f16 v43, v43, v40
	v_add_f16_e32 v55, v56, v55
	v_fma_f16 v56, v40, 0x2de8, -v58
	v_add_f16_e32 v12, v59, v12
	v_fmamk_f16 v59, v41, 0x2de8, v61
	v_pack_b32_f16 v42, v41, v42
	v_pk_mul_f16 v43, 0xbacdb836, v43
	v_fma_f16 v41, v41, 0x2de8, -v61
	v_add_f16_e32 v7, v56, v7
	v_fmac_f16_e32 v58, 0x2de8, v40
	v_add_f16_e32 v40, v59, v45
	v_pk_fma_f16 v45, 0xb836bacd, v42, v43 neg_lo:[0,1,0] neg_hi:[0,1,0]
	v_pk_fma_f16 v56, 0xb836bacd, v42, v43
	v_pk_fma_f16 v42, 0xb836bacd, v42, v43 neg_lo:[0,0,1] neg_hi:[0,0,1]
	v_mul_f16_e32 v43, 0xbbf7, v36
	v_add_f16_e32 v37, v41, v37
	v_mul_f16_e32 v41, 0xbbf7, v35
	v_add_f16_e32 v14, v58, v14
	v_pk_add_f16 v39, v45, v39
	v_fma_f16 v45, v33, 0x2de8, -v43
	v_pk_add_f16 v32, v42, v32
	v_mul_f16_e32 v42, 0xb1e1, v36
	v_fmamk_f16 v58, v34, 0x2de8, v41
	v_fmac_f16_e32 v43, 0x2de8, v33
	v_add_f16_e32 v11, v45, v11
	v_fma_f16 v41, v34, 0x2de8, -v41
	v_fma_f16 v45, v33, 0xbbdd, -v42
	v_add_f16_e32 v38, v58, v38
	v_mul_f16_e32 v58, 0xb1e1, v35
	v_add_f16_e32 v43, v43, v48
	v_add_f16_e32 v6, v41, v6
	;; [unrolled: 1-line block ×3, first 2 shown]
	v_fmac_f16_e32 v42, 0xbbdd, v33
	v_fmamk_f16 v46, v34, 0xbbdd, v58
	v_fma_f16 v48, v34, 0xbbdd, -v58
	v_mul_f16_e32 v58, 0x3bb2, v35
	v_mul_f16_e32 v45, 0x3bb2, v36
	v_add_f16_e32 v42, v42, v44
	v_add_f16_e32 v46, v46, v49
	;; [unrolled: 1-line block ×3, first 2 shown]
	v_fmamk_f16 v47, v34, 0xb461, v58
	v_mul_f16_e32 v48, 0x35c8, v36
	v_fma_f16 v49, v34, 0xb461, -v58
	v_fma_f16 v59, v33, 0xb461, -v45
	v_fmac_f16_e32 v45, 0xb461, v33
	v_add_f16_e32 v5, v47, v5
	v_mul_f16_e32 v47, 0x35c8, v35
	v_fma_f16 v58, v33, 0x3b76, -v48
	v_add_f16_e32 v13, v49, v13
	v_mul_f16_e32 v49, 0xbb29, v36
	v_add_f16_e32 v10, v59, v10
	v_add_f16_e32 v45, v45, v51
	v_fmamk_f16 v51, v34, 0x3b76, v47
	v_add_f16_e32 v9, v58, v9
	v_fma_f16 v47, v34, 0x3b76, -v47
	v_fma_f16 v58, v33, 0x3722, -v49
	v_mul_f16_e32 v59, 0xbb29, v35
	v_fmac_f16_e32 v48, 0x3b76, v33
	v_fmac_f16_e32 v49, 0x3722, v33
	v_add_f16_e32 v4, v47, v4
	v_add_f16_e32 v47, v58, v52
	v_fmamk_f16 v52, v34, 0x3722, v59
	v_mul_f16_e32 v58, 0xb836, v35
	v_add_f16_e32 v16, v48, v16
	v_mul_f16_e32 v48, 0xb836, v36
	v_fma_f16 v59, v34, 0x3722, -v59
	v_add_f16_e32 v52, v52, v57
	v_fmamk_f16 v57, v34, 0xbacd, v58
	v_add_f16_e32 v51, v51, v60
	v_fma_f16 v60, v33, 0xbacd, -v48
	v_add_f16_e32 v49, v49, v53
	v_add_f16_e32 v53, v59, v54
	v_fmac_f16_e32 v48, 0xbacd, v33
	v_add_f16_e32 v50, v57, v50
	v_fma_f16 v54, v34, 0xbacd, -v58
	v_mul_f16_e32 v57, 0x3a62, v36
	v_mul_f16_e32 v58, 0x3a62, v35
	v_pack_b32_f16 v35, v35, v33
	v_add_f16_e32 v48, v48, v55
	v_add_f16_e32 v12, v54, v12
	v_fma_f16 v54, v33, 0xb8d2, -v57
	v_fmamk_f16 v55, v34, 0xb8d2, v58
	v_pack_b32_f16 v36, v34, v36
	v_pk_mul_f16 v35, 0x39e93964, v35
	v_fmac_f16_e32 v57, 0xb8d2, v33
	v_fma_f16 v33, v34, 0xb8d2, -v58
	v_add_f16_e32 v7, v54, v7
	v_add_f16_e32 v34, v55, v40
	v_pk_fma_f16 v40, 0x396439e9, v36, v35 neg_lo:[0,1,0] neg_hi:[0,1,0]
	v_pk_fma_f16 v54, 0x396439e9, v36, v35
	v_mul_f16_e32 v55, 0xbbb2, v30
	v_pk_fma_f16 v35, 0x396439e9, v36, v35 neg_lo:[0,0,1] neg_hi:[0,0,1]
	v_pk_add_f16 v56, v56, v62
	v_add_f16_e32 v33, v33, v37
	v_pk_add_f16 v36, v40, v39
	v_fma_f16 v37, v29, 0xb461, -v55
	v_mul_f16_e32 v39, 0xbbb2, v31
	v_pk_add_f16 v32, v35, v32
	v_mul_f16_e32 v35, 0x3836, v30
	v_pk_add_f16 v40, v54, v56
	v_add_f16_e32 v11, v37, v11
	v_fmamk_f16 v37, v28, 0xb461, v39
	v_fmac_f16_e32 v55, 0xb461, v29
	v_fma_f16 v39, v28, 0xb461, -v39
	v_fma_f16 v54, v29, 0xbacd, -v35
	v_mul_f16_e32 v56, 0x3836, v31
	v_add_f16_e32 v37, v37, v38
	v_add_f16_e32 v38, v55, v43
	v_add_f16_e32 v6, v39, v6
	v_add_f16_e32 v39, v54, v41
	v_fmamk_f16 v41, v28, 0xbacd, v56
	v_mul_f16_e32 v43, 0x3964, v30
	v_fmac_f16_e32 v35, 0xbacd, v29
	v_fma_f16 v54, v28, 0xbacd, -v56
	v_mul_f16_e32 v55, 0x3964, v31
	v_add_f16_e32 v41, v41, v46
	v_fma_f16 v46, v29, 0x39e9, -v43
	v_add_f16_e32 v35, v35, v42
	v_add_f16_e32 v42, v54, v44
	v_fmamk_f16 v44, v28, 0x39e9, v55
	v_mul_f16_e32 v54, 0xbb29, v30
	v_fmac_f16_e32 v43, 0x39e9, v29
	v_add_f16_e32 v10, v46, v10
	v_fma_f16 v46, v28, 0x39e9, -v55
	v_add_f16_e32 v5, v44, v5
	v_fma_f16 v44, v29, 0x3722, -v54
	v_mul_f16_e32 v55, 0xbb29, v31
	v_add_f16_e32 v43, v43, v45
	v_mul_f16_e32 v45, 0xb1e1, v30
	v_add_f16_e32 v8, v68, v8
	v_add_f16_e32 v13, v46, v13
	;; [unrolled: 1-line block ×3, first 2 shown]
	v_fmamk_f16 v44, v28, 0x3722, v55
	v_fma_f16 v46, v28, 0x3722, -v55
	v_fma_f16 v55, v29, 0xbbdd, -v45
	v_mul_f16_e32 v56, 0xb1e1, v31
	v_add_f16_e32 v8, v64, v8
	v_fmac_f16_e32 v54, 0x3722, v29
	v_add_f16_e32 v44, v44, v51
	v_add_f16_e32 v4, v46, v4
	;; [unrolled: 1-line block ×3, first 2 shown]
	v_fmamk_f16 v47, v28, 0xbbdd, v56
	v_mul_f16_e32 v51, 0x3bf7, v30
	v_add_f16_e32 v8, v60, v8
	v_add_f16_e32 v16, v54, v16
	v_fmac_f16_e32 v45, 0xbbdd, v29
	v_fma_f16 v54, v28, 0xbbdd, -v56
	v_mul_f16_e32 v55, 0x3bf7, v31
	v_add_f16_e32 v47, v47, v52
	v_fma_f16 v52, v29, 0x2de8, -v51
	v_fmac_f16_e32 v51, 0x2de8, v29
	v_add_f16_e32 v45, v45, v49
	v_add_f16_e32 v49, v54, v53
	v_mul_f16_e32 v54, 0xb5c8, v30
	v_add_f16_e32 v8, v52, v8
	v_fma_f16 v52, v28, 0x2de8, -v55
	v_add_f16_e32 v48, v51, v48
	v_mul_f16_e32 v51, 0xb5c8, v31
	v_pack_b32_f16 v31, v31, v29
	v_fmamk_f16 v53, v28, 0x2de8, v55
	v_add_f16_e32 v12, v52, v12
	v_fma_f16 v52, v29, 0x3b76, -v54
	v_fmac_f16_e32 v54, 0x3b76, v29
	v_fmamk_f16 v29, v28, 0x3b76, v51
	v_fma_f16 v51, v28, 0x3b76, -v51
	v_pack_b32_f16 v28, v28, v30
	v_pk_mul_f16 v30, 0xb8d2ba62, v31
	v_add_f16_e32 v50, v53, v50
	v_add_f16_e32 v29, v29, v34
	v_mul_f16_e32 v34, 0xba62, v25
	v_add_f16_e32 v33, v51, v33
	v_pk_fma_f16 v31, 0xba62b8d2, v28, v30 neg_lo:[0,1,0] neg_hi:[0,1,0]
	v_mul_f16_e32 v51, 0xba62, v27
	v_add_f16_e32 v14, v57, v14
	v_add_f16_e32 v7, v52, v7
	v_pk_add_f16 v31, v31, v36
	v_pk_fma_f16 v36, 0xba62b8d2, v28, v30
	v_pk_fma_f16 v28, 0xba62b8d2, v28, v30 neg_lo:[0,0,1] neg_hi:[0,0,1]
	v_fma_f16 v30, v26, 0xb8d2, -v34
	v_fmac_f16_e32 v34, 0xb8d2, v26
	v_add_f16_e32 v14, v54, v14
	v_pk_add_f16 v36, v36, v40
	v_fmamk_f16 v40, v24, 0xb8d2, v51
	v_pk_add_f16 v28, v28, v32
	v_mul_f16_e32 v32, 0x3bb2, v25
	v_add_f16_e32 v11, v30, v11
	v_mul_f16_e32 v30, 0x3bb2, v27
	v_fma_f16 v51, v24, 0xb8d2, -v51
	v_add_f16_e32 v37, v40, v37
	v_fma_f16 v40, v26, 0xb461, -v32
	v_add_f16_e32 v34, v34, v38
	v_fmamk_f16 v38, v24, 0xb461, v30
	v_add_f16_e32 v6, v51, v6
	v_mul_f16_e32 v51, 0xb5c8, v25
	v_fmac_f16_e32 v32, 0xb461, v26
	v_add_f16_e32 v39, v40, v39
	v_mul_f16_e32 v40, 0xb5c8, v27
	v_fma_f16 v30, v24, 0xb461, -v30
	v_add_f16_e32 v38, v38, v41
	v_fma_f16 v41, v26, 0x3b76, -v51
	v_add_f16_e32 v32, v32, v35
	v_fmamk_f16 v35, v24, 0x3b76, v40
	v_fmac_f16_e32 v51, 0x3b76, v26
	v_add_f16_e32 v30, v30, v42
	v_mul_f16_e32 v42, 0xb836, v25
	v_add_f16_e32 v10, v41, v10
	v_mul_f16_e32 v41, 0xb836, v27
	v_fma_f16 v40, v24, 0x3b76, -v40
	v_add_f16_e32 v5, v35, v5
	v_fma_f16 v35, v26, 0xbacd, -v42
	v_add_f16_e32 v43, v51, v43
	v_fmamk_f16 v51, v24, 0xbacd, v41
	v_add_f16_e32 v13, v40, v13
	v_mul_f16_e32 v40, 0x3bf7, v25
	v_fmac_f16_e32 v42, 0xbacd, v26
	v_add_f16_e32 v9, v35, v9
	v_mul_f16_e32 v35, 0x3bf7, v27
	v_fma_f16 v41, v24, 0xbacd, -v41
	v_add_f16_e32 v44, v51, v44
	v_fma_f16 v51, v26, 0x2de8, -v40
	v_add_f16_e32 v16, v42, v16
	v_fmamk_f16 v42, v24, 0x2de8, v35
	v_fmac_f16_e32 v40, 0x2de8, v26
	v_add_f16_e32 v4, v41, v4
	v_mul_f16_e32 v41, 0xb964, v25
	v_add_f16_e32 v46, v51, v46
	v_mul_f16_e32 v51, 0xb964, v27
	v_fma_f16 v35, v24, 0x2de8, -v35
	v_add_f16_e32 v42, v42, v47
	v_fma_f16 v47, v26, 0x39e9, -v41
	v_add_f16_e32 v40, v40, v45
	v_fmamk_f16 v45, v24, 0x39e9, v51
	v_add_f16_e32 v35, v35, v49
	v_mul_f16_e32 v49, 0xb1e1, v25
	v_fmac_f16_e32 v41, 0x39e9, v26
	v_add_f16_e32 v8, v47, v8
	v_mul_f16_e32 v47, 0xb1e1, v27
	v_add_f16_e32 v45, v45, v50
	v_fma_f16 v50, v26, 0xbbdd, -v49
	v_fmac_f16_e32 v49, 0xbbdd, v26
	v_pack_b32_f16 v26, v27, v26
	v_fma_f16 v51, v24, 0x39e9, -v51
	v_add_f16_e32 v41, v41, v48
	v_fmamk_f16 v48, v24, 0xbbdd, v47
	v_fma_f16 v47, v24, 0xbbdd, -v47
	v_pack_b32_f16 v24, v24, v25
	v_pk_mul_f16 v25, 0x37223b29, v26
	v_mul_f16_e32 v27, 0xb836, v22
	v_add_f16_e32 v12, v51, v12
	v_mul_f16_e32 v51, 0xb836, v23
	v_add_f16_e32 v29, v48, v29
	v_pk_fma_f16 v48, 0x3b293722, v24, v25 neg_lo:[0,1,0] neg_hi:[0,1,0]
	v_add_f16_e32 v14, v49, v14
	v_mul_f16_e32 v49, 0x3b29, v22
	v_add_f16_e32 v33, v47, v33
	v_pk_fma_f16 v47, 0x3b293722, v24, v25
	v_pk_fma_f16 v24, 0x3b293722, v24, v25 neg_lo:[0,0,1] neg_hi:[0,0,1]
	v_fma_f16 v26, v21, 0xbacd, -v27
	v_add_f16_e32 v7, v50, v7
	v_fmamk_f16 v50, v20, 0xbacd, v51
	v_pk_add_f16 v31, v48, v31
	v_mul_f16_e32 v48, 0x3b29, v23
	v_fma_f16 v25, v21, 0x3722, -v49
	v_pk_add_f16 v24, v24, v28
	v_mul_f16_e32 v28, 0xbbf7, v22
	v_fmac_f16_e32 v27, 0xbacd, v21
	v_fma_f16 v51, v20, 0xbacd, -v51
	v_pk_add_f16 v36, v47, v36
	v_fmamk_f16 v47, v20, 0x3722, v48
	v_fmac_f16_e32 v49, 0x3722, v21
	v_add_f16_e32 v11, v26, v11
	v_mul_f16_e32 v26, 0xbbf7, v23
	v_fma_f16 v48, v20, 0x3722, -v48
	v_add_f16_e32 v37, v50, v37
	v_fma_f16 v50, v21, 0x2de8, -v28
	v_add_f16_e32 v25, v25, v39
	v_mul_f16_e32 v39, 0x3a62, v23
	v_add_f16_e32 v27, v27, v34
	v_fmamk_f16 v34, v20, 0x2de8, v26
	v_fmac_f16_e32 v28, 0x2de8, v21
	v_add_f16_e32 v6, v51, v6
	v_mul_f16_e32 v51, 0x3a62, v22
	v_fma_f16 v26, v20, 0x2de8, -v26
	v_add_f16_e32 v32, v49, v32
	v_fmamk_f16 v49, v20, 0xb8d2, v39
	v_add_f16_e32 v30, v48, v30
	v_mul_f16_e32 v48, 0xb5c8, v22
	v_add_f16_e32 v10, v50, v10
	v_mul_f16_e32 v50, 0xb5c8, v23
	v_fma_f16 v39, v20, 0xb8d2, -v39
	v_add_f16_e32 v38, v47, v38
	v_fma_f16 v47, v21, 0xb8d2, -v51
	v_add_f16_e32 v5, v34, v5
	;; [unrolled: 2-line block ×3, first 2 shown]
	v_fmamk_f16 v43, v20, 0x3b76, v50
	v_add_f16_e32 v13, v26, v13
	v_mul_f16_e32 v26, 0xb1e1, v22
	v_add_f16_e32 v4, v39, v4
	v_mul_f16_e32 v39, 0x3964, v22
	v_fmac_f16_e32 v51, 0xb8d2, v21
	v_fmac_f16_e32 v48, 0x3b76, v21
	v_add_f16_e32 v9, v47, v9
	v_mul_f16_e32 v47, 0xb1e1, v23
	v_add_f16_e32 v44, v49, v44
	v_fma_f16 v49, v21, 0xbbdd, -v26
	v_fmac_f16_e32 v26, 0xbbdd, v21
	v_add_f16_e32 v34, v34, v46
	v_mul_f16_e32 v46, 0x3964, v23
	v_add_f16_e32 v42, v43, v42
	v_fma_f16 v43, v21, 0x39e9, -v39
	v_fmac_f16_e32 v39, 0x39e9, v21
	v_pack_b32_f16 v21, v23, v21
	v_fma_f16 v50, v20, 0x3b76, -v50
	v_add_f16_e32 v16, v51, v16
	v_fmamk_f16 v51, v20, 0xbbdd, v47
	v_fma_f16 v47, v20, 0xbbdd, -v47
	v_add_f16_e32 v40, v48, v40
	v_fmamk_f16 v48, v20, 0x39e9, v46
	v_fma_f16 v46, v20, 0x39e9, -v46
	v_pack_b32_f16 v20, v20, v22
	v_pk_mul_f16 v21, 0xb461bbb2, v21
	v_add_f16_e32 v35, v50, v35
	v_mul_f16_e32 v50, 0xb1e1, v15
	v_add_f16_e32 v29, v48, v29
	v_add_f16_e32 v8, v49, v8
	v_pk_fma_f16 v48, 0xbbb2b461, v20, v21 neg_lo:[0,1,0] neg_hi:[0,1,0]
	v_mul_f16_e32 v49, 0xb1e1, v19
	v_add_f16_e32 v45, v51, v45
	v_fma_f16 v51, v18, 0xbbdd, -v50
	v_add_f16_e32 v12, v47, v12
	v_mul_f16_e32 v47, 0x35c8, v19
	v_add_f16_e32 v33, v46, v33
	v_pk_add_f16 v31, v48, v31
	v_pk_fma_f16 v46, 0xbbb2b461, v20, v21
	v_mul_f16_e32 v48, 0xb836, v19
	v_pk_fma_f16 v20, 0xbbb2b461, v20, v21 neg_lo:[0,0,1] neg_hi:[0,0,1]
	v_add_f16_e32 v26, v26, v41
	v_fmamk_f16 v41, v17, 0xbbdd, v49
	v_fmac_f16_e32 v50, 0xbbdd, v18
	v_mul_f16_e32 v23, 0x35c8, v15
	v_fma_f16 v49, v17, 0xbbdd, -v49
	v_add_f16_e32 v7, v43, v7
	v_fmamk_f16 v43, v17, 0x3b76, v47
	v_add_f16_e32 v14, v39, v14
	v_mul_f16_e32 v39, 0xb836, v15
	v_fma_f16 v47, v17, 0x3b76, -v47
	v_pk_add_f16 v36, v46, v36
	v_fmamk_f16 v46, v17, 0xbacd, v48
	v_pk_add_f16 v20, v20, v24
	v_mul_f16_e32 v24, 0x3964, v15
	v_add_f16_e32 v11, v51, v11
	v_mul_f16_e32 v51, 0x3964, v19
	v_fma_f16 v48, v17, 0xbacd, -v48
	v_fma_f16 v22, v18, 0x3b76, -v23
	;; [unrolled: 1-line block ×3, first 2 shown]
	v_add_f16_e32 v37, v41, v37
	v_fma_f16 v41, v18, 0x39e9, -v24
	v_add_f16_e32 v27, v50, v27
	v_fmamk_f16 v50, v17, 0x39e9, v51
	v_add_f16_e32 v6, v49, v6
	v_mul_f16_e32 v49, 0xba62, v15
	v_add_f16_e32 v30, v47, v30
	v_mul_f16_e32 v47, 0x3b29, v15
	;; [unrolled: 2-line block ×3, first 2 shown]
	v_fmac_f16_e32 v23, 0x3b76, v18
	v_fmac_f16_e32 v39, 0xbacd, v18
	;; [unrolled: 1-line block ×3, first 2 shown]
	v_add_f16_e32 v22, v22, v25
	v_mul_f16_e32 v25, 0xba62, v19
	v_add_f16_e32 v38, v43, v38
	v_fma_f16 v43, v18, 0xb8d2, -v49
	v_fmac_f16_e32 v49, 0xb8d2, v18
	v_add_f16_e32 v10, v21, v10
	v_mul_f16_e32 v21, 0x3b29, v19
	v_add_f16_e32 v5, v46, v5
	v_fma_f16 v46, v18, 0x3722, -v47
	v_fmac_f16_e32 v47, 0x3722, v18
	;; [unrolled: 5-line block ×3, first 2 shown]
	v_pack_b32_f16 v18, v19, v18
	v_fma_f16 v51, v17, 0x39e9, -v51
	v_add_f16_e32 v23, v23, v32
	v_fmamk_f16 v32, v17, 0xb8d2, v25
	v_fma_f16 v25, v17, 0xb8d2, -v25
	v_add_f16_e32 v28, v39, v28
	v_fmamk_f16 v39, v17, 0x3722, v21
	v_fma_f16 v21, v17, 0x3722, -v21
	v_add_f16_e32 v16, v24, v16
	v_fmamk_f16 v24, v17, 0xb461, v41
	v_fma_f16 v41, v17, 0xb461, -v41
	v_pack_b32_f16 v15, v17, v15
	v_pk_mul_f16 v17, 0x2de83bf7, v18
	v_add_f16_e32 v12, v21, v12
	v_add_f16_e32 v24, v24, v29
	v_mul_u32_u24_e32 v29, 0x223, v0
	v_pack_b32_f16 v22, v22, v38
	v_pk_fma_f16 v21, 0x3bf72de8, v15, v17 neg_lo:[0,1,0] neg_hi:[0,1,0]
	v_pack_b32_f16 v11, v11, v37
	v_pack_b32_f16 v5, v10, v5
	;; [unrolled: 1-line block ×3, first 2 shown]
	ds_write2_b32 v1, v11, v22 offset0:1 offset1:2
	ds_write2_b32 v1, v5, v9 offset0:3 offset1:4
	v_pk_add_f16 v21, v21, v31
	v_pk_fma_f16 v31, 0x3bf72de8, v15, v17
	v_pk_fma_f16 v15, 0x3bf72de8, v15, v17 neg_lo:[0,0,1] neg_hi:[0,0,1]
	v_lshrrev_b32_e32 v17, 16, v29
	v_add_f16_e32 v51, v51, v4
	v_add_f16_e32 v4, v43, v34
	v_add_f16_e32 v32, v32, v42
	v_add_f16_e32 v8, v46, v8
	v_mul_lo_u16 v10, 0x78, v17
	v_add_f16_e32 v18, v39, v45
	v_add_f16_e32 v7, v50, v7
	v_pk_add_f16 v29, v31, v36
	v_pk_add_f16 v15, v15, v20
	v_sub_nc_u16 v9, v0, v10
	v_pack_b32_f16 v0, v8, v18
	v_pack_b32_f16 v8, v4, v32
	v_add_f16_e32 v26, v47, v26
	v_add_f16_e32 v14, v48, v14
	v_and_b32_e32 v11, 0xffff, v9
	v_add_f16_e32 v33, v41, v33
	v_add_f16_e32 v19, v49, v40
	;; [unrolled: 1-line block ×3, first 2 shown]
	v_pack_b32_f16 v7, v7, v24
	v_mad_u64_u32 v[4:5], null, s0, v11, 0
	v_alignbit_b32 v10, v15, v29, 16
	v_alignbit_b32 v15, v29, v21, 16
	v_pack_b32_f16 v12, v26, v12
	v_pack_b32_f16 v14, v14, v33
	ds_write2_b32 v1, v8, v0 offset0:5 offset1:6
	ds_write2_b32 v1, v3, v7 offset1:7
	ds_write2_b32 v1, v15, v10 offset0:8 offset1:9
	ds_write2_b32 v1, v14, v12 offset0:10 offset1:11
	v_pack_b32_f16 v3, v16, v51
	v_pack_b32_f16 v7, v19, v25
	;; [unrolled: 1-line block ×3, first 2 shown]
	v_mov_b32_e32 v0, v5
	v_pack_b32_f16 v10, v28, v13
	v_pack_b32_f16 v12, v27, v6
	ds_write2_b32 v1, v7, v3 offset0:12 offset1:13
	ds_write2_b32 v1, v10, v8 offset0:14 offset1:15
	ds_write_b32 v1, v12 offset:64
	v_mad_u64_u32 v[5:6], null, s1, v11, v[0:1]
	v_mul_lo_u16 v0, v9, 17
	v_mov_b32_e32 v1, 2
	s_lshl_b64 s[0:1], s[4:5], 2
	v_lshlrev_b32_e32 v7, 2, v17
	s_add_u32 s3, s10, s0
	s_addc_u32 s4, s11, s1
	v_lshlrev_b32_sdwa v0, v1, v0 dst_sel:DWORD dst_unused:UNUSED_PAD src0_sel:DWORD src1_sel:WORD_0
	v_mul_lo_u32 v1, s2, v17
	s_lshl_b64 s[0:1], s[14:15], 2
	v_lshlrev_b64 v[3:4], 2, v[4:5]
	s_add_u32 s3, s3, s0
	s_addc_u32 s4, s4, s1
	s_lshl_b64 s[0:1], s[6:7], 2
	v_add3_u32 v8, 0, v0, v7
	s_add_u32 s0, s3, s0
	v_lshlrev_b64 v[5:6], 2, v[1:2]
	v_add_nc_u32_e32 v1, s2, v1
	v_add3_u32 v0, 0, v7, v0
	s_addc_u32 s1, s4, s1
	v_add_co_u32 v21, vcc_lo, s0, v3
	s_waitcnt lgkmcnt(0)
	s_barrier
	buffer_gl0_inv
	v_add_co_ci_u32_e32 v22, vcc_lo, s1, v4, vcc_lo
	v_lshlrev_b64 v[3:4], 2, v[1:2]
	v_add_nc_u32_e32 v1, s2, v1
	ds_read2_b32 v[7:8], v8 offset1:1
	ds_read2_b32 v[9:10], v0 offset0:2 offset1:3
	v_add_co_u32 v5, vcc_lo, v21, v5
	v_add_co_ci_u32_e32 v6, vcc_lo, v22, v6, vcc_lo
	v_lshlrev_b64 v[11:12], 2, v[1:2]
	v_add_nc_u32_e32 v1, s2, v1
	v_add_co_u32 v3, vcc_lo, v21, v3
	v_add_co_ci_u32_e32 v4, vcc_lo, v22, v4, vcc_lo
	v_lshlrev_b64 v[13:14], 2, v[1:2]
	v_add_nc_u32_e32 v1, s2, v1
	;; [unrolled: 4-line block ×3, first 2 shown]
	v_add_co_u32 v13, vcc_lo, v21, v13
	v_add_co_ci_u32_e32 v14, vcc_lo, v22, v14, vcc_lo
	ds_read2_b32 v[17:18], v0 offset0:4 offset1:5
	ds_read2_b32 v[19:20], v0 offset0:6 offset1:7
	s_waitcnt lgkmcnt(3)
	global_store_dword v[5:6], v7, off
	global_store_dword v[3:4], v8, off
	s_waitcnt lgkmcnt(2)
	global_store_dword v[11:12], v9, off
	global_store_dword v[13:14], v10, off
	v_lshlrev_b64 v[3:4], 2, v[1:2]
	v_add_nc_u32_e32 v1, s2, v1
	v_add_co_u32 v5, vcc_lo, v21, v15
	v_add_co_ci_u32_e32 v6, vcc_lo, v22, v16, vcc_lo
	v_lshlrev_b64 v[7:8], 2, v[1:2]
	v_add_nc_u32_e32 v1, s2, v1
	v_add_co_u32 v3, vcc_lo, v21, v3
	v_add_co_ci_u32_e32 v4, vcc_lo, v22, v4, vcc_lo
	;; [unrolled: 4-line block ×3, first 2 shown]
	v_add_co_u32 v9, vcc_lo, v21, v9
	v_lshlrev_b64 v[11:12], 2, v[1:2]
	v_add_nc_u32_e32 v1, s2, v1
	v_add_co_ci_u32_e32 v10, vcc_lo, v22, v10, vcc_lo
	s_waitcnt lgkmcnt(1)
	global_store_dword v[5:6], v17, off
	global_store_dword v[3:4], v18, off
	s_waitcnt lgkmcnt(0)
	global_store_dword v[7:8], v19, off
	global_store_dword v[9:10], v20, off
	ds_read2_b32 v[7:8], v0 offset0:8 offset1:9
	ds_read2_b32 v[9:10], v0 offset0:10 offset1:11
	v_lshlrev_b64 v[3:4], 2, v[1:2]
	v_add_nc_u32_e32 v1, s2, v1
	v_add_co_u32 v5, vcc_lo, v21, v11
	v_add_co_ci_u32_e32 v6, vcc_lo, v22, v12, vcc_lo
	v_lshlrev_b64 v[11:12], 2, v[1:2]
	v_add_nc_u32_e32 v1, s2, v1
	v_add_co_u32 v3, vcc_lo, v21, v3
	v_add_co_ci_u32_e32 v4, vcc_lo, v22, v4, vcc_lo
	;; [unrolled: 4-line block ×4, first 2 shown]
	ds_read2_b32 v[17:18], v0 offset0:12 offset1:13
	ds_read2_b32 v[19:20], v0 offset0:14 offset1:15
	s_waitcnt lgkmcnt(3)
	global_store_dword v[5:6], v7, off
	global_store_dword v[3:4], v8, off
	s_waitcnt lgkmcnt(2)
	global_store_dword v[11:12], v9, off
	global_store_dword v[13:14], v10, off
	v_lshlrev_b64 v[3:4], 2, v[1:2]
	v_add_nc_u32_e32 v1, s2, v1
	ds_read_b32 v11, v0 offset:64
	v_add_co_u32 v5, vcc_lo, v21, v15
	v_add_co_ci_u32_e32 v6, vcc_lo, v22, v16, vcc_lo
	v_lshlrev_b64 v[7:8], 2, v[1:2]
	v_add_nc_u32_e32 v1, s2, v1
	v_add_co_u32 v3, vcc_lo, v21, v3
	v_add_co_ci_u32_e32 v4, vcc_lo, v22, v4, vcc_lo
	v_lshlrev_b64 v[9:10], 2, v[1:2]
	v_add_nc_u32_e32 v1, s2, v1
	v_add_co_u32 v7, vcc_lo, v21, v7
	v_add_co_ci_u32_e32 v8, vcc_lo, v22, v8, vcc_lo
	v_lshlrev_b64 v[0:1], 2, v[1:2]
	v_add_co_u32 v9, vcc_lo, v21, v9
	v_add_co_ci_u32_e32 v10, vcc_lo, v22, v10, vcc_lo
	v_add_co_u32 v0, vcc_lo, v21, v0
	v_add_co_ci_u32_e32 v1, vcc_lo, v22, v1, vcc_lo
	s_waitcnt lgkmcnt(2)
	global_store_dword v[5:6], v17, off
	global_store_dword v[3:4], v18, off
	s_waitcnt lgkmcnt(1)
	global_store_dword v[7:8], v19, off
	global_store_dword v[9:10], v20, off
	s_waitcnt lgkmcnt(0)
	global_store_dword v[0:1], v11, off
	s_endpgm
	.section	.rodata,"a",@progbits
	.p2align	6, 0x0
	.amdhsa_kernel fft_rtc_fwd_len17_factors_17_wgs_120_tpt_1_half_op_CI_CI_sbrc_xy_z_aligned
		.amdhsa_group_segment_fixed_size 0
		.amdhsa_private_segment_fixed_size 0
		.amdhsa_kernarg_size 104
		.amdhsa_user_sgpr_count 6
		.amdhsa_user_sgpr_private_segment_buffer 1
		.amdhsa_user_sgpr_dispatch_ptr 0
		.amdhsa_user_sgpr_queue_ptr 0
		.amdhsa_user_sgpr_kernarg_segment_ptr 1
		.amdhsa_user_sgpr_dispatch_id 0
		.amdhsa_user_sgpr_flat_scratch_init 0
		.amdhsa_user_sgpr_private_segment_size 0
		.amdhsa_wavefront_size32 1
		.amdhsa_uses_dynamic_stack 0
		.amdhsa_system_sgpr_private_segment_wavefront_offset 0
		.amdhsa_system_sgpr_workgroup_id_x 1
		.amdhsa_system_sgpr_workgroup_id_y 0
		.amdhsa_system_sgpr_workgroup_id_z 0
		.amdhsa_system_sgpr_workgroup_info 0
		.amdhsa_system_vgpr_workitem_id 0
		.amdhsa_next_free_vgpr 69
		.amdhsa_next_free_sgpr 30
		.amdhsa_reserve_vcc 1
		.amdhsa_reserve_flat_scratch 0
		.amdhsa_float_round_mode_32 0
		.amdhsa_float_round_mode_16_64 0
		.amdhsa_float_denorm_mode_32 3
		.amdhsa_float_denorm_mode_16_64 3
		.amdhsa_dx10_clamp 1
		.amdhsa_ieee_mode 1
		.amdhsa_fp16_overflow 0
		.amdhsa_workgroup_processor_mode 1
		.amdhsa_memory_ordered 1
		.amdhsa_forward_progress 0
		.amdhsa_shared_vgpr_count 0
		.amdhsa_exception_fp_ieee_invalid_op 0
		.amdhsa_exception_fp_denorm_src 0
		.amdhsa_exception_fp_ieee_div_zero 0
		.amdhsa_exception_fp_ieee_overflow 0
		.amdhsa_exception_fp_ieee_underflow 0
		.amdhsa_exception_fp_ieee_inexact 0
		.amdhsa_exception_int_div_zero 0
	.end_amdhsa_kernel
	.text
.Lfunc_end0:
	.size	fft_rtc_fwd_len17_factors_17_wgs_120_tpt_1_half_op_CI_CI_sbrc_xy_z_aligned, .Lfunc_end0-fft_rtc_fwd_len17_factors_17_wgs_120_tpt_1_half_op_CI_CI_sbrc_xy_z_aligned
                                        ; -- End function
	.section	.AMDGPU.csdata,"",@progbits
; Kernel info:
; codeLenInByte = 9184
; NumSgprs: 32
; NumVgprs: 69
; ScratchSize: 0
; MemoryBound: 0
; FloatMode: 240
; IeeeMode: 1
; LDSByteSize: 0 bytes/workgroup (compile time only)
; SGPRBlocks: 3
; VGPRBlocks: 8
; NumSGPRsForWavesPerEU: 32
; NumVGPRsForWavesPerEU: 69
; Occupancy: 12
; WaveLimiterHint : 1
; COMPUTE_PGM_RSRC2:SCRATCH_EN: 0
; COMPUTE_PGM_RSRC2:USER_SGPR: 6
; COMPUTE_PGM_RSRC2:TRAP_HANDLER: 0
; COMPUTE_PGM_RSRC2:TGID_X_EN: 1
; COMPUTE_PGM_RSRC2:TGID_Y_EN: 0
; COMPUTE_PGM_RSRC2:TGID_Z_EN: 0
; COMPUTE_PGM_RSRC2:TIDIG_COMP_CNT: 0
	.text
	.p2alignl 6, 3214868480
	.fill 48, 4, 3214868480
	.type	__hip_cuid_2e93531f74e0e590,@object ; @__hip_cuid_2e93531f74e0e590
	.section	.bss,"aw",@nobits
	.globl	__hip_cuid_2e93531f74e0e590
__hip_cuid_2e93531f74e0e590:
	.byte	0                               ; 0x0
	.size	__hip_cuid_2e93531f74e0e590, 1

	.ident	"AMD clang version 19.0.0git (https://github.com/RadeonOpenCompute/llvm-project roc-6.4.0 25133 c7fe45cf4b819c5991fe208aaa96edf142730f1d)"
	.section	".note.GNU-stack","",@progbits
	.addrsig
	.addrsig_sym __hip_cuid_2e93531f74e0e590
	.amdgpu_metadata
---
amdhsa.kernels:
  - .args:
      - .actual_access:  read_only
        .address_space:  global
        .offset:         0
        .size:           8
        .value_kind:     global_buffer
      - .offset:         8
        .size:           8
        .value_kind:     by_value
      - .actual_access:  read_only
        .address_space:  global
        .offset:         16
        .size:           8
        .value_kind:     global_buffer
      - .actual_access:  read_only
        .address_space:  global
        .offset:         24
        .size:           8
        .value_kind:     global_buffer
      - .actual_access:  read_only
        .address_space:  global
        .offset:         32
        .size:           8
        .value_kind:     global_buffer
      - .offset:         40
        .size:           8
        .value_kind:     by_value
      - .actual_access:  read_only
        .address_space:  global
        .offset:         48
        .size:           8
        .value_kind:     global_buffer
      - .actual_access:  read_only
        .address_space:  global
        .offset:         56
        .size:           8
        .value_kind:     global_buffer
      - .offset:         64
        .size:           4
        .value_kind:     by_value
      - .actual_access:  read_only
        .address_space:  global
        .offset:         72
        .size:           8
        .value_kind:     global_buffer
      - .actual_access:  read_only
        .address_space:  global
        .offset:         80
        .size:           8
        .value_kind:     global_buffer
      - .actual_access:  read_only
        .address_space:  global
        .offset:         88
        .size:           8
        .value_kind:     global_buffer
      - .actual_access:  write_only
        .address_space:  global
        .offset:         96
        .size:           8
        .value_kind:     global_buffer
    .group_segment_fixed_size: 0
    .kernarg_segment_align: 8
    .kernarg_segment_size: 104
    .language:       OpenCL C
    .language_version:
      - 2
      - 0
    .max_flat_workgroup_size: 120
    .name:           fft_rtc_fwd_len17_factors_17_wgs_120_tpt_1_half_op_CI_CI_sbrc_xy_z_aligned
    .private_segment_fixed_size: 0
    .sgpr_count:     32
    .sgpr_spill_count: 0
    .symbol:         fft_rtc_fwd_len17_factors_17_wgs_120_tpt_1_half_op_CI_CI_sbrc_xy_z_aligned.kd
    .uniform_work_group_size: 1
    .uses_dynamic_stack: false
    .vgpr_count:     69
    .vgpr_spill_count: 0
    .wavefront_size: 32
    .workgroup_processor_mode: 1
amdhsa.target:   amdgcn-amd-amdhsa--gfx1030
amdhsa.version:
  - 1
  - 2
...

	.end_amdgpu_metadata
